;; amdgpu-corpus repo=ROCm/rocFFT kind=compiled arch=gfx950 opt=O3
	.text
	.amdgcn_target "amdgcn-amd-amdhsa--gfx950"
	.amdhsa_code_object_version 6
	.protected	fft_rtc_back_len52_factors_13_4_wgs_64_tpt_4_halfLds_sp_ip_CI_unitstride_sbrr_R2C_dirReg ; -- Begin function fft_rtc_back_len52_factors_13_4_wgs_64_tpt_4_halfLds_sp_ip_CI_unitstride_sbrr_R2C_dirReg
	.globl	fft_rtc_back_len52_factors_13_4_wgs_64_tpt_4_halfLds_sp_ip_CI_unitstride_sbrr_R2C_dirReg
	.p2align	8
	.type	fft_rtc_back_len52_factors_13_4_wgs_64_tpt_4_halfLds_sp_ip_CI_unitstride_sbrr_R2C_dirReg,@function
fft_rtc_back_len52_factors_13_4_wgs_64_tpt_4_halfLds_sp_ip_CI_unitstride_sbrr_R2C_dirReg: ; @fft_rtc_back_len52_factors_13_4_wgs_64_tpt_4_halfLds_sp_ip_CI_unitstride_sbrr_R2C_dirReg
; %bb.0:
	s_load_dwordx2 s[8:9], s[0:1], 0x50
	s_load_dwordx4 s[4:7], s[0:1], 0x0
	s_load_dwordx2 s[10:11], s[0:1], 0x18
	v_lshrrev_b32_e32 v1, 2, v0
	v_lshl_or_b32 v6, s2, 4, v1
	v_mov_b32_e32 v4, 0
	s_waitcnt lgkmcnt(0)
	v_cmp_lt_u64_e64 s[2:3], s[6:7], 2
	v_mov_b32_e32 v7, v4
	s_and_b64 vcc, exec, s[2:3]
	v_mov_b64_e32 v[2:3], 0
	s_cbranch_vccnz .LBB0_8
; %bb.1:
	s_load_dwordx2 s[2:3], s[0:1], 0x10
	s_add_u32 s12, s10, 8
	s_addc_u32 s13, s11, 0
	s_mov_b64 s[14:15], 1
	v_mov_b64_e32 v[2:3], 0
	s_waitcnt lgkmcnt(0)
	s_add_u32 s16, s2, 8
	s_addc_u32 s17, s3, 0
.LBB0_2:                                ; =>This Inner Loop Header: Depth=1
	s_load_dwordx2 s[18:19], s[16:17], 0x0
                                        ; implicit-def: $vgpr8_vgpr9
	s_waitcnt lgkmcnt(0)
	v_or_b32_e32 v5, s19, v7
	v_cmp_ne_u64_e32 vcc, 0, v[4:5]
	s_and_saveexec_b64 s[2:3], vcc
	s_xor_b64 s[20:21], exec, s[2:3]
	s_cbranch_execz .LBB0_4
; %bb.3:                                ;   in Loop: Header=BB0_2 Depth=1
	v_cvt_f32_u32_e32 v5, s18
	v_cvt_f32_u32_e32 v8, s19
	s_sub_u32 s2, 0, s18
	s_subb_u32 s3, 0, s19
	v_fmac_f32_e32 v5, 0x4f800000, v8
	v_rcp_f32_e32 v5, v5
	s_nop 0
	v_mul_f32_e32 v5, 0x5f7ffffc, v5
	v_mul_f32_e32 v8, 0x2f800000, v5
	v_trunc_f32_e32 v8, v8
	v_fmac_f32_e32 v5, 0xcf800000, v8
	v_cvt_u32_f32_e32 v12, v8
	v_cvt_u32_f32_e32 v5, v5
	v_mul_lo_u32 v8, s2, v12
	v_mul_hi_u32 v10, s2, v5
	v_mul_lo_u32 v9, s3, v5
	v_add_u32_e32 v10, v10, v8
	v_mul_lo_u32 v13, s2, v5
	v_add_u32_e32 v14, v10, v9
	v_mul_hi_u32 v8, v5, v13
	v_mul_hi_u32 v11, v5, v14
	v_mul_lo_u32 v10, v5, v14
	v_mov_b32_e32 v9, v4
	v_lshl_add_u64 v[8:9], v[8:9], 0, v[10:11]
	v_mul_hi_u32 v11, v12, v13
	v_mul_lo_u32 v13, v12, v13
	v_add_co_u32_e32 v8, vcc, v8, v13
	v_mul_hi_u32 v10, v12, v14
	s_nop 0
	v_addc_co_u32_e32 v8, vcc, v9, v11, vcc
	v_mov_b32_e32 v9, v4
	s_nop 0
	v_addc_co_u32_e32 v11, vcc, 0, v10, vcc
	v_mul_lo_u32 v10, v12, v14
	v_lshl_add_u64 v[8:9], v[8:9], 0, v[10:11]
	v_add_co_u32_e32 v5, vcc, v5, v8
	v_mul_lo_u32 v10, s2, v5
	s_nop 0
	v_addc_co_u32_e32 v12, vcc, v12, v9, vcc
	v_mul_lo_u32 v8, s2, v12
	v_mul_hi_u32 v9, s2, v5
	v_add_u32_e32 v8, v9, v8
	v_mul_lo_u32 v9, s3, v5
	v_add_u32_e32 v13, v8, v9
	v_mul_hi_u32 v15, v12, v10
	v_mul_lo_u32 v16, v12, v10
	v_mul_hi_u32 v9, v5, v13
	v_mul_lo_u32 v8, v5, v13
	v_mul_hi_u32 v10, v5, v10
	v_mov_b32_e32 v11, v4
	v_lshl_add_u64 v[8:9], v[10:11], 0, v[8:9]
	v_add_co_u32_e32 v8, vcc, v8, v16
	v_mul_hi_u32 v14, v12, v13
	s_nop 0
	v_addc_co_u32_e32 v8, vcc, v9, v15, vcc
	v_mul_lo_u32 v10, v12, v13
	s_nop 0
	v_addc_co_u32_e32 v11, vcc, 0, v14, vcc
	v_mov_b32_e32 v9, v4
	v_lshl_add_u64 v[8:9], v[8:9], 0, v[10:11]
	v_add_co_u32_e32 v5, vcc, v5, v8
	v_mul_hi_u32 v10, v6, v5
	s_nop 0
	v_addc_co_u32_e32 v12, vcc, v12, v9, vcc
	v_mad_u64_u32 v[8:9], s[2:3], v6, v12, 0
	v_mov_b32_e32 v11, v4
	v_lshl_add_u64 v[8:9], v[10:11], 0, v[8:9]
	v_mad_u64_u32 v[10:11], s[2:3], v7, v12, 0
	v_mad_u64_u32 v[12:13], s[2:3], v7, v5, 0
	v_add_co_u32_e32 v5, vcc, v8, v12
	s_nop 1
	v_addc_co_u32_e32 v8, vcc, v9, v13, vcc
	v_mov_b32_e32 v9, v4
	s_nop 0
	v_addc_co_u32_e32 v11, vcc, 0, v11, vcc
	v_lshl_add_u64 v[8:9], v[8:9], 0, v[10:11]
	v_mul_lo_u32 v5, s19, v8
	v_mul_lo_u32 v12, s18, v9
	v_mad_u64_u32 v[10:11], s[2:3], s18, v8, 0
	v_add3_u32 v5, v11, v12, v5
	v_sub_u32_e32 v11, v7, v5
	v_mov_b32_e32 v12, s19
	v_sub_co_u32_e32 v14, vcc, v6, v10
	s_nop 1
	v_subb_co_u32_e64 v10, s[2:3], v11, v12, vcc
	v_subrev_co_u32_e64 v11, s[2:3], s18, v14
	v_subb_co_u32_e32 v5, vcc, v7, v5, vcc
	s_nop 0
	v_subbrev_co_u32_e64 v10, s[2:3], 0, v10, s[2:3]
	v_cmp_le_u32_e64 s[2:3], s19, v10
	v_cmp_le_u32_e32 vcc, s19, v5
	s_nop 0
	v_cndmask_b32_e64 v12, 0, -1, s[2:3]
	v_cmp_le_u32_e64 s[2:3], s18, v11
	s_nop 1
	v_cndmask_b32_e64 v11, 0, -1, s[2:3]
	v_cmp_eq_u32_e64 s[2:3], s19, v10
	s_nop 1
	v_cndmask_b32_e64 v15, v12, v11, s[2:3]
	v_lshl_add_u64 v[10:11], v[8:9], 0, 2
	v_lshl_add_u64 v[12:13], v[8:9], 0, 1
	v_cmp_ne_u32_e64 s[2:3], 0, v15
	s_nop 1
	v_cndmask_b32_e64 v11, v13, v11, s[2:3]
	v_cndmask_b32_e64 v13, 0, -1, vcc
	v_cmp_le_u32_e32 vcc, s18, v14
	s_nop 1
	v_cndmask_b32_e64 v14, 0, -1, vcc
	v_cmp_eq_u32_e32 vcc, s19, v5
	s_nop 1
	v_cndmask_b32_e32 v5, v13, v14, vcc
	v_cmp_ne_u32_e32 vcc, 0, v5
	v_cndmask_b32_e64 v5, v12, v10, s[2:3]
	s_nop 0
	v_cndmask_b32_e32 v9, v9, v11, vcc
	v_cndmask_b32_e32 v8, v8, v5, vcc
.LBB0_4:                                ;   in Loop: Header=BB0_2 Depth=1
	s_andn2_saveexec_b64 s[2:3], s[20:21]
	s_cbranch_execz .LBB0_6
; %bb.5:                                ;   in Loop: Header=BB0_2 Depth=1
	v_cvt_f32_u32_e32 v5, s18
	s_sub_i32 s20, 0, s18
	v_rcp_iflag_f32_e32 v5, v5
	s_nop 0
	v_mul_f32_e32 v5, 0x4f7ffffe, v5
	v_cvt_u32_f32_e32 v5, v5
	v_mul_lo_u32 v8, s20, v5
	v_mul_hi_u32 v8, v5, v8
	v_add_u32_e32 v5, v5, v8
	v_mul_hi_u32 v5, v6, v5
	v_mul_lo_u32 v8, v5, s18
	v_sub_u32_e32 v8, v6, v8
	v_add_u32_e32 v9, 1, v5
	v_subrev_u32_e32 v10, s18, v8
	v_cmp_le_u32_e32 vcc, s18, v8
	s_nop 1
	v_cndmask_b32_e32 v8, v8, v10, vcc
	v_cndmask_b32_e32 v5, v5, v9, vcc
	v_add_u32_e32 v9, 1, v5
	v_cmp_le_u32_e32 vcc, s18, v8
	s_nop 1
	v_cndmask_b32_e32 v8, v5, v9, vcc
	v_mov_b32_e32 v9, v4
.LBB0_6:                                ;   in Loop: Header=BB0_2 Depth=1
	s_or_b64 exec, exec, s[2:3]
	v_mad_u64_u32 v[10:11], s[2:3], v8, s18, 0
	s_load_dwordx2 s[2:3], s[12:13], 0x0
	v_mul_lo_u32 v5, v9, s18
	v_mul_lo_u32 v12, v8, s19
	v_add3_u32 v5, v11, v12, v5
	v_sub_co_u32_e32 v6, vcc, v6, v10
	s_add_u32 s14, s14, 1
	s_nop 0
	v_subb_co_u32_e32 v5, vcc, v7, v5, vcc
	s_addc_u32 s15, s15, 0
	s_waitcnt lgkmcnt(0)
	v_mul_lo_u32 v5, s2, v5
	v_mul_lo_u32 v7, s3, v6
	v_mad_u64_u32 v[2:3], s[2:3], s2, v6, v[2:3]
	s_add_u32 s12, s12, 8
	v_add3_u32 v3, v7, v3, v5
	s_addc_u32 s13, s13, 0
	v_mov_b64_e32 v[6:7], s[6:7]
	s_add_u32 s16, s16, 8
	v_cmp_ge_u64_e32 vcc, s[14:15], v[6:7]
	s_addc_u32 s17, s17, 0
	s_cbranch_vccnz .LBB0_9
; %bb.7:                                ;   in Loop: Header=BB0_2 Depth=1
	v_mov_b64_e32 v[6:7], v[8:9]
	s_branch .LBB0_2
.LBB0_8:
	v_mov_b64_e32 v[8:9], v[6:7]
.LBB0_9:
	s_lshl_b64 s[2:3], s[6:7], 3
	s_add_u32 s2, s10, s2
	s_addc_u32 s3, s11, s3
	s_load_dwordx2 s[6:7], s[2:3], 0x0
	s_load_dwordx2 s[10:11], s[0:1], 0x20
	v_and_b32_e32 v24, 3, v0
	v_or_b32_e32 v28, 4, v24
	v_or_b32_e32 v30, 8, v24
	s_waitcnt lgkmcnt(0)
	v_mul_lo_u32 v4, s6, v9
	v_mul_lo_u32 v5, s7, v8
	v_mad_u64_u32 v[2:3], s[0:1], s6, v8, v[2:3]
	v_add3_u32 v3, v5, v3, v4
	v_cmp_gt_u64_e32 vcc, s[10:11], v[8:9]
	v_cmp_le_u64_e64 s[0:1], s[10:11], v[8:9]
	s_and_saveexec_b64 s[2:3], s[0:1]
	s_xor_b64 s[0:1], exec, s[2:3]
; %bb.10:
	v_or_b32_e32 v28, 4, v24
	v_or_b32_e32 v30, 8, v24
; %bb.11:
	s_or_saveexec_b64 s[0:1], s[0:1]
	v_mul_u32_u24_e32 v0, 53, v1
	v_lshl_add_u64 v[26:27], v[2:3], 3, s[8:9]
	v_lshlrev_b32_e32 v32, 3, v24
	v_lshlrev_b32_e32 v0, 3, v0
	s_xor_b64 exec, exec, s[0:1]
	s_cbranch_execz .LBB0_13
; %bb.12:
	v_mov_b32_e32 v33, 0
	v_lshl_add_u64 v[2:3], v[26:27], 0, v[32:33]
	global_load_dwordx2 v[4:5], v[2:3], off
	global_load_dwordx2 v[6:7], v[2:3], off offset:32
	global_load_dwordx2 v[8:9], v[2:3], off offset:64
	;; [unrolled: 1-line block ×12, first 2 shown]
	v_add3_u32 v1, 0, v0, v32
	s_waitcnt vmcnt(11)
	ds_write2_b64 v1, v[4:5], v[6:7] offset1:4
	s_waitcnt vmcnt(9)
	ds_write2_b64 v1, v[8:9], v[10:11] offset0:8 offset1:12
	s_waitcnt vmcnt(7)
	ds_write2_b64 v1, v[12:13], v[14:15] offset0:16 offset1:20
	;; [unrolled: 2-line block ×5, first 2 shown]
	s_waitcnt vmcnt(0)
	ds_write_b64 v1, v[38:39] offset:384
.LBB0_13:
	s_or_b64 exec, exec, s[0:1]
	v_add_u32_e32 v25, 0, v0
	v_add3_u32 v29, 0, v32, v0
	s_waitcnt lgkmcnt(0)
	; wave barrier
	s_waitcnt lgkmcnt(0)
	v_add_u32_e32 v33, v25, v32
	ds_read2_b64 v[10:13], v29 offset0:12 offset1:16
	ds_read_b64 v[2:3], v33
	ds_read2_b64 v[4:7], v29 offset0:4 offset1:8
	ds_read2_b64 v[52:55], v29 offset0:20 offset1:24
	ds_read2_b64 v[48:51], v29 offset0:28 offset1:32
	ds_read2_b64 v[40:43], v29 offset0:36 offset1:40
	ds_read2_b64 v[34:37], v29 offset0:44 offset1:48
	s_waitcnt lgkmcnt(4)
	v_pk_add_f32 v[0:1], v[2:3], v[4:5]
	s_mov_b32 s0, 0xbeedf032
	v_pk_add_f32 v[0:1], v[0:1], v[6:7]
	s_mov_b32 s2, 0x3f62ad3f
	v_pk_add_f32 v[0:1], v[0:1], v[10:11]
	s_waitcnt lgkmcnt(0)
	v_pk_add_f32 v[18:19], v[4:5], v[36:37] neg_lo:[0,1] neg_hi:[0,1]
	v_pk_add_f32 v[0:1], v[0:1], v[12:13]
	v_pk_add_f32 v[16:17], v[36:37], v[4:5]
	;; [unrolled: 1-line block ×3, first 2 shown]
	v_pk_add_f32 v[22:23], v[6:7], v[34:35] neg_lo:[0,1] neg_hi:[0,1]
	v_pk_add_f32 v[0:1], v[0:1], v[54:55]
	s_mov_b32 s10, 0xbf52af12
	v_pk_add_f32 v[0:1], v[0:1], v[48:49]
	v_pk_add_f32 v[20:21], v[34:35], v[6:7]
	;; [unrolled: 1-line block ×3, first 2 shown]
	v_pk_mul_f32 v[6:7], v[22:23], s[10:11] op_sel_hi:[1,0]
	v_pk_add_f32 v[0:1], v[0:1], v[40:41]
	v_pk_add_f32 v[46:47], v[50:51], v[52:53]
	;; [unrolled: 1-line block ×3, first 2 shown]
	v_pk_add_f32 v[50:51], v[52:53], v[50:51] neg_lo:[0,1] neg_hi:[0,1]
	v_pk_add_f32 v[0:1], v[0:1], v[34:35]
	s_mov_b32 s8, 0x3f7e222b
	v_pk_add_f32 v[64:65], v[0:1], v[36:37]
	v_pk_mul_f32 v[0:1], v[18:19], s[0:1] op_sel_hi:[1,0]
	s_mov_b32 s0, 0x3f116cb1
	v_pk_fma_f32 v[4:5], v[16:17], s[2:3], v[0:1] op_sel:[0,0,1] op_sel_hi:[1,0,0]
	v_pk_fma_f32 v[0:1], v[16:17], s[2:3], v[0:1] op_sel:[0,0,1] op_sel_hi:[1,0,0] neg_lo:[0,0,1] neg_hi:[0,0,1]
	v_mov_b32_e32 v8, v4
	v_mov_b32_e32 v9, v1
	v_pk_add_f32 v[14:15], v[2:3], v[8:9]
	v_pk_fma_f32 v[8:9], v[20:21], s[0:1], v[6:7] op_sel:[0,0,1] op_sel_hi:[1,0,0]
	v_pk_fma_f32 v[6:7], v[20:21], s[0:1], v[6:7] op_sel:[0,0,1] op_sel_hi:[1,0,0] neg_lo:[0,0,1] neg_hi:[0,0,1]
	v_mov_b32_e32 v34, v8
	v_mov_b32_e32 v35, v7
	v_pk_add_f32 v[36:37], v[42:43], v[10:11]
	v_pk_add_f32 v[38:39], v[10:11], v[42:43] neg_lo:[0,1] neg_hi:[0,1]
	s_mov_b32 s6, 0x3df6dbef
	v_pk_mul_f32 v[10:11], v[50:51], s[8:9] op_sel_hi:[1,0]
	s_mov_b32 s14, 0xbf7e222b
	v_pk_add_f32 v[34:35], v[34:35], v[14:15]
	v_pk_add_f32 v[42:43], v[40:41], v[12:13]
	v_pk_add_f32 v[44:45], v[12:13], v[40:41] neg_lo:[0,1] neg_hi:[0,1]
	v_pk_fma_f32 v[12:13], v[46:47], s[6:7], v[10:11] op_sel:[0,0,1] op_sel_hi:[1,0,0]
	v_pk_fma_f32 v[10:11], v[46:47], s[6:7], v[10:11] op_sel:[0,0,1] op_sel_hi:[1,0,0] neg_lo:[0,0,1] neg_hi:[0,0,1]
	v_mov_b32_e32 v14, v36
	v_mov_b32_e32 v15, v38
	s_mov_b32 s7, s14
	s_mov_b32 s12, 0xbf6f5d39
	v_pk_add_f32 v[52:53], v[48:49], v[54:55]
	v_pk_add_f32 v[56:57], v[54:55], v[48:49] neg_lo:[0,1] neg_hi:[0,1]
	v_mov_b32_e32 v40, v39
	v_mov_b32_e32 v41, v37
	s_mov_b32 s15, s6
	v_pk_mul_f32 v[48:49], v[14:15], s[6:7]
	s_mov_b32 s13, 0xbeb58ec6
	v_pk_fma_f32 v[14:15], v[40:41], s[14:15], v[48:49] neg_lo:[1,0,0] neg_hi:[1,0,0]
	v_pk_fma_f32 v[54:55], v[40:41], s[14:15], v[48:49]
	v_pk_fma_f32 v[40:41], v[40:41], s[14:15], v[48:49] neg_lo:[0,0,1] neg_hi:[0,0,1]
	v_mov_b32_e32 v48, v42
	v_mov_b32_e32 v49, v44
	s_mov_b32 s16, s13
	s_mov_b32 s17, s12
	v_mov_b32_e32 v15, v55
	v_mov_b32_e32 v55, v41
	;; [unrolled: 1-line block ×4, first 2 shown]
	v_pk_mul_f32 v[48:49], v[48:49], s[16:17]
	v_pk_add_f32 v[34:35], v[54:55], v[34:35]
	v_pk_fma_f32 v[54:55], v[40:41], s[12:13], v[48:49] neg_lo:[1,0,0] neg_hi:[1,0,0]
	v_pk_fma_f32 v[58:59], v[40:41], s[12:13], v[48:49]
	v_pk_fma_f32 v[40:41], v[40:41], s[12:13], v[48:49] neg_lo:[0,0,1] neg_hi:[0,0,1]
	v_mov_b32_e32 v55, v59
	v_mov_b32_e32 v59, v41
	s_mov_b32 s28, 0x3f29c268
	s_mov_b32 s16, 0xbf3f9e67
	v_pk_add_f32 v[48:49], v[58:59], v[34:35]
	v_pk_mul_f32 v[34:35], v[44:45], s[28:29] op_sel_hi:[1,0]
	s_mov_b32 s18, 0xbf29c268
	v_pk_fma_f32 v[40:41], v[42:43], s[16:17], v[34:35] op_sel:[0,0,1] op_sel_hi:[1,0,0]
	v_pk_fma_f32 v[34:35], v[42:43], s[16:17], v[34:35] op_sel:[0,0,1] op_sel_hi:[1,0,0] neg_lo:[0,0,1] neg_hi:[0,0,1]
	v_mov_b32_e32 v60, v46
	v_mov_b32_e32 v61, v50
	s_mov_b32 s17, s18
	v_mov_b32_e32 v58, v51
	v_mov_b32_e32 v59, v47
	s_mov_b32 s19, s16
	v_pk_mul_f32 v[62:63], v[60:61], s[16:17]
	s_mov_b32 s22, 0xbe750f2a
	v_pk_fma_f32 v[60:61], v[58:59], s[18:19], v[62:63] neg_lo:[1,0,0] neg_hi:[1,0,0]
	v_pk_fma_f32 v[66:67], v[58:59], s[18:19], v[62:63]
	v_pk_fma_f32 v[58:59], v[58:59], s[18:19], v[62:63] neg_lo:[0,0,1] neg_hi:[0,0,1]
	v_mov_b32_e32 v61, v67
	v_mov_b32_e32 v67, v59
	v_pk_add_f32 v[66:67], v[66:67], v[48:49]
	s_mov_b32 s20, 0xbf788fa5
	v_pk_mul_f32 v[48:49], v[38:39], s[22:23] op_sel_hi:[1,0]
	v_mov_b32_e32 v62, v52
	v_pk_fma_f32 v[58:59], v[36:37], s[20:21], v[48:49] op_sel:[0,0,1] op_sel_hi:[1,0,0]
	v_pk_fma_f32 v[48:49], v[36:37], s[20:21], v[48:49] op_sel:[0,0,1] op_sel_hi:[1,0,0] neg_lo:[0,0,1] neg_hi:[0,0,1]
	v_mov_b32_e32 v63, v56
	s_mov_b32 s21, s22
	v_mov_b32_e32 v68, v57
	v_mov_b32_e32 v69, v53
	s_mov_b32 s23, s20
	v_pk_mul_f32 v[70:71], v[62:63], s[20:21]
	s_movk_i32 s1, 0x60
	v_pk_fma_f32 v[62:63], v[68:69], s[22:23], v[70:71] neg_lo:[1,0,0] neg_hi:[1,0,0]
	v_pk_fma_f32 v[72:73], v[68:69], s[22:23], v[70:71]
	v_pk_fma_f32 v[68:69], v[68:69], s[22:23], v[70:71] neg_lo:[0,0,1] neg_hi:[0,0,1]
	v_mov_b32_e32 v63, v73
	v_mov_b32_e32 v73, v69
	v_pk_add_f32 v[66:67], v[72:73], v[66:67]
	v_mad_u32_u24 v8, v24, s1, v29
	s_waitcnt lgkmcnt(0)
	; wave barrier
	ds_write2_b64 v8, v[64:65], v[66:67] offset1:1
	v_pk_mul_f32 v[66:67], v[18:19], s[10:11] op_sel_hi:[1,0]
	s_mov_b32 s24, s13
	v_pk_fma_f32 v[64:65], v[16:17], s[0:1], v[66:67] op_sel:[0,0,1] op_sel_hi:[1,0,0]
	v_pk_fma_f32 v[66:67], v[16:17], s[0:1], v[66:67] op_sel:[0,0,1] op_sel_hi:[1,0,0] neg_lo:[0,0,1] neg_hi:[0,0,1]
	v_mov_b32_e32 v68, v64
	v_mov_b32_e32 v69, v67
	v_pk_mul_f32 v[70:71], v[22:23], s[12:13] op_sel_hi:[1,0]
	v_pk_add_f32 v[72:73], v[2:3], v[68:69]
	v_pk_fma_f32 v[68:69], v[20:21], s[24:25], v[70:71] op_sel:[0,0,1] op_sel_hi:[1,0,0]
	v_pk_fma_f32 v[70:71], v[20:21], s[24:25], v[70:71] op_sel:[0,0,1] op_sel_hi:[1,0,0] neg_lo:[0,0,1] neg_hi:[0,0,1]
	v_mov_b32_e32 v74, v68
	v_mov_b32_e32 v75, v71
	v_pk_add_f32 v[72:73], v[74:75], v[72:73]
	v_mov_b32_e32 v74, v58
	v_mov_b32_e32 v75, v49
	v_pk_add_f32 v[72:73], v[74:75], v[72:73]
	;; [unrolled: 3-line block ×3, first 2 shown]
	v_mov_b32_e32 v74, v12
	v_mov_b32_e32 v75, v11
	s_mov_b32 s26, 0x3eedf032
	v_pk_add_f32 v[76:77], v[74:75], v[72:73]
	v_pk_mul_f32 v[72:73], v[56:57], s[26:27] op_sel_hi:[1,0]
	v_pk_mul_f32 v[82:83], v[22:23], s[22:23] op_sel_hi:[1,0]
	v_pk_fma_f32 v[74:75], v[52:53], s[2:3], v[72:73] op_sel:[0,0,1] op_sel_hi:[1,0,0]
	v_pk_fma_f32 v[72:73], v[52:53], s[2:3], v[72:73] op_sel:[0,0,1] op_sel_hi:[1,0,0] neg_lo:[0,0,1] neg_hi:[0,0,1]
	v_mov_b32_e32 v78, v74
	v_mov_b32_e32 v79, v73
	v_pk_add_f32 v[100:101], v[78:79], v[76:77]
	v_pk_mul_f32 v[76:77], v[18:19], s[14:15] op_sel_hi:[1,0]
	v_pk_fma_f32 v[84:85], v[20:21], s[20:21], v[82:83] op_sel:[0,0,1] op_sel_hi:[1,0,0]
	v_pk_fma_f32 v[78:79], v[16:17], s[6:7], v[76:77] op_sel:[0,0,1] op_sel_hi:[1,0,0]
	v_pk_fma_f32 v[76:77], v[16:17], s[6:7], v[76:77] op_sel:[0,0,1] op_sel_hi:[1,0,0] neg_lo:[0,0,1] neg_hi:[0,0,1]
	v_mov_b32_e32 v80, v78
	v_mov_b32_e32 v81, v77
	v_pk_fma_f32 v[82:83], v[20:21], s[20:21], v[82:83] op_sel:[0,0,1] op_sel_hi:[1,0,0] neg_lo:[0,0,1] neg_hi:[0,0,1]
	v_pk_add_f32 v[80:81], v[2:3], v[80:81]
	v_mov_b32_e32 v86, v84
	v_mov_b32_e32 v87, v83
	s_mov_b32 s30, 0x3f6f5d39
	v_pk_add_f32 v[88:89], v[86:87], v[80:81]
	v_pk_mul_f32 v[80:81], v[38:39], s[30:31] op_sel_hi:[1,0]
	v_pk_mul_f32 v[106:107], v[22:23], s[28:29] op_sel_hi:[1,0]
	v_pk_fma_f32 v[86:87], v[36:37], s[24:25], v[80:81] op_sel:[0,0,1] op_sel_hi:[1,0,0]
	v_pk_fma_f32 v[80:81], v[36:37], s[24:25], v[80:81] op_sel:[0,0,1] op_sel_hi:[1,0,0] neg_lo:[0,0,1] neg_hi:[0,0,1]
	v_mov_b32_e32 v90, v86
	v_mov_b32_e32 v91, v81
	v_pk_add_f32 v[92:93], v[90:91], v[88:89]
	v_pk_mul_f32 v[88:89], v[44:45], s[26:27] op_sel_hi:[1,0]
	v_pk_fma_f32 v[108:109], v[20:21], s[16:17], v[106:107] op_sel:[0,0,1] op_sel_hi:[1,0,0]
	v_pk_fma_f32 v[90:91], v[42:43], s[2:3], v[88:89] op_sel:[0,0,1] op_sel_hi:[1,0,0]
	v_pk_fma_f32 v[88:89], v[42:43], s[2:3], v[88:89] op_sel:[0,0,1] op_sel_hi:[1,0,0] neg_lo:[0,0,1] neg_hi:[0,0,1]
	v_mov_b32_e32 v94, v90
	v_mov_b32_e32 v95, v89
	v_pk_add_f32 v[96:97], v[94:95], v[92:93]
	v_pk_mul_f32 v[92:93], v[50:51], s[10:11] op_sel_hi:[1,0]
	v_pk_fma_f32 v[106:107], v[20:21], s[16:17], v[106:107] op_sel:[0,0,1] op_sel_hi:[1,0,0] neg_lo:[0,0,1] neg_hi:[0,0,1]
	v_pk_fma_f32 v[94:95], v[46:47], s[0:1], v[92:93] op_sel:[0,0,1] op_sel_hi:[1,0,0]
	v_pk_fma_f32 v[92:93], v[46:47], s[0:1], v[92:93] op_sel:[0,0,1] op_sel_hi:[1,0,0] neg_lo:[0,0,1] neg_hi:[0,0,1]
	v_mov_b32_e32 v98, v94
	v_mov_b32_e32 v99, v93
	v_pk_add_f32 v[102:103], v[98:99], v[96:97]
	v_pk_mul_f32 v[96:97], v[56:57], s[18:19] op_sel_hi:[1,0]
	v_mov_b32_e32 v110, v108
	v_pk_fma_f32 v[98:99], v[52:53], s[16:17], v[96:97] op_sel:[0,0,1] op_sel_hi:[1,0,0]
	v_pk_fma_f32 v[96:97], v[52:53], s[16:17], v[96:97] op_sel:[0,0,1] op_sel_hi:[1,0,0] neg_lo:[0,0,1] neg_hi:[0,0,1]
	v_mov_b32_e32 v104, v98
	v_mov_b32_e32 v105, v97
	v_pk_add_f32 v[102:103], v[104:105], v[102:103]
	ds_write2_b64 v8, v[100:101], v[102:103] offset0:2 offset1:3
	v_pk_mul_f32 v[100:101], v[18:19], s[12:13] op_sel_hi:[1,0]
	v_mov_b32_e32 v111, v107
	v_pk_fma_f32 v[102:103], v[16:17], s[24:25], v[100:101] op_sel:[0,0,1] op_sel_hi:[1,0,0]
	v_pk_fma_f32 v[100:101], v[16:17], s[24:25], v[100:101] op_sel:[0,0,1] op_sel_hi:[1,0,0] neg_lo:[0,0,1] neg_hi:[0,0,1]
	v_mov_b32_e32 v104, v102
	v_mov_b32_e32 v105, v101
	v_pk_add_f32 v[104:105], v[2:3], v[104:105]
	s_mov_b32 s28, 0x3f52af12
	v_pk_add_f32 v[104:105], v[110:111], v[104:105]
	v_pk_mul_f32 v[110:111], v[38:39], s[26:27] op_sel_hi:[1,0]
	v_pk_mul_f32 v[132:133], v[22:23], s[8:9] op_sel_hi:[1,0]
	v_pk_fma_f32 v[112:113], v[36:37], s[2:3], v[110:111] op_sel:[0,0,1] op_sel_hi:[1,0,0]
	v_pk_fma_f32 v[110:111], v[36:37], s[2:3], v[110:111] op_sel:[0,0,1] op_sel_hi:[1,0,0] neg_lo:[0,0,1] neg_hi:[0,0,1]
	v_mov_b32_e32 v114, v112
	v_mov_b32_e32 v115, v111
	v_pk_add_f32 v[104:105], v[114:115], v[104:105]
	v_pk_mul_f32 v[114:115], v[44:45], s[14:15] op_sel_hi:[1,0]
	s_mov_b32 s14, 0x3e750f2a
	v_pk_fma_f32 v[116:117], v[42:43], s[6:7], v[114:115] op_sel:[0,0,1] op_sel_hi:[1,0,0]
	v_pk_fma_f32 v[114:115], v[42:43], s[6:7], v[114:115] op_sel:[0,0,1] op_sel_hi:[1,0,0] neg_lo:[0,0,1] neg_hi:[0,0,1]
	v_mov_b32_e32 v118, v116
	v_mov_b32_e32 v119, v115
	v_pk_add_f32 v[104:105], v[118:119], v[104:105]
	v_pk_mul_f32 v[118:119], v[50:51], s[14:15] op_sel_hi:[1,0]
	v_pk_fma_f32 v[134:135], v[20:21], s[6:7], v[132:133] op_sel:[0,0,1] op_sel_hi:[1,0,0]
	v_pk_fma_f32 v[120:121], v[46:47], s[20:21], v[118:119] op_sel:[0,0,1] op_sel_hi:[1,0,0]
	v_pk_fma_f32 v[118:119], v[46:47], s[20:21], v[118:119] op_sel:[0,0,1] op_sel_hi:[1,0,0] neg_lo:[0,0,1] neg_hi:[0,0,1]
	v_mov_b32_e32 v122, v120
	v_mov_b32_e32 v123, v119
	v_pk_add_f32 v[104:105], v[122:123], v[104:105]
	v_pk_mul_f32 v[122:123], v[56:57], s[28:29] op_sel_hi:[1,0]
	v_pk_fma_f32 v[132:133], v[20:21], s[6:7], v[132:133] op_sel:[0,0,1] op_sel_hi:[1,0,0] neg_lo:[0,0,1] neg_hi:[0,0,1]
	v_pk_fma_f32 v[124:125], v[52:53], s[0:1], v[122:123] op_sel:[0,0,1] op_sel_hi:[1,0,0]
	v_pk_fma_f32 v[122:123], v[52:53], s[0:1], v[122:123] op_sel:[0,0,1] op_sel_hi:[1,0,0] neg_lo:[0,0,1] neg_hi:[0,0,1]
	v_mov_b32_e32 v126, v124
	v_mov_b32_e32 v127, v123
	v_pk_add_f32 v[104:105], v[126:127], v[104:105]
	v_pk_mul_f32 v[126:127], v[18:19], s[18:19] op_sel_hi:[1,0]
	v_mov_b32_e32 v136, v134
	v_pk_fma_f32 v[128:129], v[16:17], s[16:17], v[126:127] op_sel:[0,0,1] op_sel_hi:[1,0,0]
	v_pk_fma_f32 v[126:127], v[16:17], s[16:17], v[126:127] op_sel:[0,0,1] op_sel_hi:[1,0,0] neg_lo:[0,0,1] neg_hi:[0,0,1]
	v_mov_b32_e32 v130, v128
	v_mov_b32_e32 v131, v127
	v_pk_add_f32 v[130:131], v[2:3], v[130:131]
	v_mov_b32_e32 v137, v133
	v_pk_add_f32 v[130:131], v[136:137], v[130:131]
	v_pk_mul_f32 v[136:137], v[38:39], s[10:11] op_sel_hi:[1,0]
	v_pk_mul_f32 v[18:19], v[18:19], s[22:23] op_sel_hi:[1,0]
	v_pk_fma_f32 v[138:139], v[36:37], s[0:1], v[136:137] op_sel:[0,0,1] op_sel_hi:[1,0,0]
	v_pk_fma_f32 v[136:137], v[36:37], s[0:1], v[136:137] op_sel:[0,0,1] op_sel_hi:[1,0,0] neg_lo:[0,0,1] neg_hi:[0,0,1]
	v_mov_b32_e32 v140, v138
	v_mov_b32_e32 v141, v137
	v_pk_add_f32 v[130:131], v[140:141], v[130:131]
	v_pk_mul_f32 v[140:141], v[44:45], s[14:15] op_sel_hi:[1,0]
	v_pk_mul_f32 v[38:39], v[38:39], s[18:19] op_sel_hi:[1,0]
	v_pk_fma_f32 v[142:143], v[42:43], s[20:21], v[140:141] op_sel:[0,0,1] op_sel_hi:[1,0,0]
	v_pk_fma_f32 v[140:141], v[42:43], s[20:21], v[140:141] op_sel:[0,0,1] op_sel_hi:[1,0,0] neg_lo:[0,0,1] neg_hi:[0,0,1]
	v_mov_b32_e32 v144, v142
	v_mov_b32_e32 v145, v141
	v_pk_add_f32 v[130:131], v[144:145], v[130:131]
	v_pk_mul_f32 v[144:145], v[50:51], s[26:27] op_sel_hi:[1,0]
	v_mov_b32_e32 v127, v129
	v_pk_fma_f32 v[146:147], v[46:47], s[2:3], v[144:145] op_sel:[0,0,1] op_sel_hi:[1,0,0]
	v_pk_fma_f32 v[144:145], v[46:47], s[2:3], v[144:145] op_sel:[0,0,1] op_sel_hi:[1,0,0] neg_lo:[0,0,1] neg_hi:[0,0,1]
	v_mov_b32_e32 v148, v146
	v_mov_b32_e32 v149, v145
	v_pk_add_f32 v[130:131], v[148:149], v[130:131]
	v_pk_mul_f32 v[148:149], v[56:57], s[12:13] op_sel_hi:[1,0]
	v_mov_b32_e32 v101, v103
	v_pk_fma_f32 v[150:151], v[52:53], s[24:25], v[148:149] op_sel:[0,0,1] op_sel_hi:[1,0,0]
	v_pk_fma_f32 v[148:149], v[52:53], s[24:25], v[148:149] op_sel:[0,0,1] op_sel_hi:[1,0,0] neg_lo:[0,0,1] neg_hi:[0,0,1]
	v_mov_b32_e32 v152, v150
	v_mov_b32_e32 v153, v149
	v_pk_add_f32 v[130:131], v[152:153], v[130:131]
	ds_write2_b64 v8, v[104:105], v[130:131] offset0:4 offset1:5
	v_pk_fma_f32 v[104:105], v[16:17], s[20:21], v[18:19] op_sel:[0,0,1] op_sel_hi:[1,0,0]
	v_pk_fma_f32 v[16:17], v[16:17], s[20:21], v[18:19] op_sel:[0,0,1] op_sel_hi:[1,0,0] neg_lo:[0,0,1] neg_hi:[0,0,1]
	v_pk_mul_f32 v[18:19], v[22:23], s[26:27] op_sel_hi:[1,0]
	v_mov_b32_e32 v1, v5
	v_pk_fma_f32 v[22:23], v[20:21], s[2:3], v[18:19] op_sel:[0,0,1] op_sel_hi:[1,0,0]
	v_pk_fma_f32 v[18:19], v[20:21], s[2:3], v[18:19] op_sel:[0,0,1] op_sel_hi:[1,0,0] neg_lo:[0,0,1] neg_hi:[0,0,1]
	v_mov_b32_e32 v20, v104
	v_mov_b32_e32 v21, v17
	v_pk_add_f32 v[20:21], v[2:3], v[20:21]
	v_mov_b32_e32 v130, v22
	v_mov_b32_e32 v131, v19
	v_pk_add_f32 v[20:21], v[130:131], v[20:21]
	v_pk_fma_f32 v[130:131], v[36:37], s[16:17], v[38:39] op_sel:[0,0,1] op_sel_hi:[1,0,0]
	v_pk_fma_f32 v[36:37], v[36:37], s[16:17], v[38:39] op_sel:[0,0,1] op_sel_hi:[1,0,0] neg_lo:[0,0,1] neg_hi:[0,0,1]
	v_pk_mul_f32 v[38:39], v[44:45], s[28:29] op_sel_hi:[1,0]
	v_mov_b32_e32 v17, v105
	v_pk_fma_f32 v[44:45], v[42:43], s[0:1], v[38:39] op_sel:[0,0,1] op_sel_hi:[1,0,0]
	v_pk_fma_f32 v[38:39], v[42:43], s[0:1], v[38:39] op_sel:[0,0,1] op_sel_hi:[1,0,0] neg_lo:[0,0,1] neg_hi:[0,0,1]
	v_pk_mul_f32 v[42:43], v[50:51], s[12:13] op_sel_hi:[1,0]
	v_mov_b32_e32 v19, v23
	v_pk_fma_f32 v[50:51], v[46:47], s[24:25], v[42:43] op_sel:[0,0,1] op_sel_hi:[1,0,0]
	v_pk_fma_f32 v[42:43], v[46:47], s[24:25], v[42:43] op_sel:[0,0,1] op_sel_hi:[1,0,0] neg_lo:[0,0,1] neg_hi:[0,0,1]
	v_pk_mul_f32 v[46:47], v[56:57], s[8:9] op_sel_hi:[1,0]
	v_pk_add_f32 v[16:17], v[2:3], v[16:17]
	v_pk_fma_f32 v[56:57], v[52:53], s[6:7], v[46:47] op_sel:[0,0,1] op_sel_hi:[1,0,0]
	v_pk_fma_f32 v[46:47], v[52:53], s[6:7], v[46:47] op_sel:[0,0,1] op_sel_hi:[1,0,0] neg_lo:[0,0,1] neg_hi:[0,0,1]
	v_mov_b32_e32 v52, v130
	v_mov_b32_e32 v53, v37
	v_pk_add_f32 v[16:17], v[18:19], v[16:17]
	v_mov_b32_e32 v37, v131
	v_pk_add_f32 v[20:21], v[52:53], v[20:21]
	v_mov_b32_e32 v52, v44
	v_mov_b32_e32 v53, v39
	v_mov_b32_e32 v39, v45
	v_pk_add_f32 v[16:17], v[36:37], v[16:17]
	v_pk_add_f32 v[20:21], v[52:53], v[20:21]
	v_mov_b32_e32 v52, v50
	v_mov_b32_e32 v53, v43
	v_mov_b32_e32 v43, v51
	v_pk_add_f32 v[16:17], v[38:39], v[16:17]
	;; [unrolled: 5-line block ×3, first 2 shown]
	v_pk_add_f32 v[20:21], v[52:53], v[20:21]
	v_pk_add_f32 v[16:17], v[46:47], v[16:17]
	v_mov_b32_e32 v77, v79
	v_mov_b32_e32 v67, v65
	ds_write2_b64 v8, v[20:21], v[16:17] offset0:6 offset1:7
	v_mov_b32_e32 v133, v135
	v_pk_add_f32 v[16:17], v[2:3], v[126:127]
	v_mov_b32_e32 v107, v109
	v_pk_add_f32 v[18:19], v[2:3], v[100:101]
	v_pk_add_f32 v[0:1], v[2:3], v[0:1]
	v_mov_b32_e32 v83, v85
	v_pk_add_f32 v[4:5], v[2:3], v[76:77]
	v_pk_add_f32 v[2:3], v[2:3], v[66:67]
	v_mov_b32_e32 v71, v69
	v_pk_add_f32 v[16:17], v[132:133], v[16:17]
	v_mov_b32_e32 v137, v139
	v_pk_add_f32 v[18:19], v[106:107], v[18:19]
	v_mov_b32_e32 v111, v113
	v_mov_b32_e32 v7, v9
	v_pk_add_f32 v[4:5], v[82:83], v[4:5]
	v_mov_b32_e32 v81, v87
	;; [unrolled: 3-line block ×3, first 2 shown]
	v_pk_add_f32 v[16:17], v[136:137], v[16:17]
	v_mov_b32_e32 v115, v117
	v_pk_add_f32 v[18:19], v[110:111], v[18:19]
	v_pk_add_f32 v[0:1], v[6:7], v[0:1]
	v_mov_b32_e32 v89, v91
	v_pk_add_f32 v[4:5], v[80:81], v[4:5]
	v_mov_b32_e32 v35, v41
	;; [unrolled: 2-line block ×4, first 2 shown]
	v_pk_add_f32 v[18:19], v[114:115], v[18:19]
	v_pk_add_f32 v[0:1], v[14:15], v[0:1]
	v_mov_b32_e32 v93, v95
	v_pk_add_f32 v[4:5], v[88:89], v[4:5]
	v_mov_b32_e32 v11, v13
	;; [unrolled: 2-line block ×4, first 2 shown]
	v_pk_add_f32 v[18:19], v[118:119], v[18:19]
	v_pk_add_f32 v[0:1], v[54:55], v[0:1]
	v_mov_b32_e32 v97, v99
	v_pk_add_f32 v[4:5], v[92:93], v[4:5]
	v_mov_b32_e32 v73, v75
	v_pk_add_f32 v[2:3], v[10:11], v[2:3]
	v_pk_add_f32 v[16:17], v[148:149], v[16:17]
	;; [unrolled: 1-line block ×6, first 2 shown]
	ds_write2_b64 v8, v[16:17], v[18:19] offset0:8 offset1:9
	v_pk_add_f32 v[0:1], v[62:63], v[0:1]
	ds_write2_b64 v8, v[4:5], v[2:3] offset0:10 offset1:11
	ds_write_b64 v8, v[0:1] offset:96
	s_waitcnt lgkmcnt(0)
	; wave barrier
	s_waitcnt lgkmcnt(0)
	ds_read_b64 v[34:35], v33
	ds_read2_b64 v[12:15], v29 offset0:13 offset1:17
	ds_read2_b64 v[8:11], v29 offset0:21 offset1:26
	;; [unrolled: 1-line block ×3, first 2 shown]
	v_lshl_add_u32 v44, v30, 3, v25
	v_lshl_add_u32 v45, v28, 3, v25
	ds_read2_b64 v[20:23], v29 offset0:30 offset1:34
	ds_read_b64 v[36:37], v44
	ds_read_b64 v[40:41], v45
	ds_read_b64 v[42:43], v29 offset:376
	v_cmp_ne_u32_e64 s[0:1], 0, v24
	v_cmp_eq_u32_e64 s[2:3], 0, v24
                                        ; implicit-def: $vgpr4
	s_and_saveexec_b64 s[6:7], s[2:3]
	s_cbranch_execz .LBB0_15
; %bb.14:
	ds_read2_b64 v[0:3], v25 offset0:12 offset1:25
	ds_read2_b64 v[4:7], v25 offset0:38 offset1:51
.LBB0_15:
	s_or_b64 exec, exec, s[6:7]
	v_mul_u32_u24_e32 v31, 3, v24
	v_mul_i32_i24_e32 v38, 3, v28
	v_mov_b32_e32 v39, 0
	v_lshl_add_u64 v[50:51], v[38:39], 3, s[4:5]
	v_lshlrev_b32_e32 v38, 3, v31
	global_load_dwordx2 v[58:59], v[50:51], off offset:16
	global_load_dwordx4 v[46:49], v[50:51], off
	global_load_dwordx2 v[60:61], v38, s[4:5] offset:16
	s_nop 0
	global_load_dwordx4 v[50:53], v38, s[4:5]
	v_mul_i32_i24_e32 v38, 3, v30
	v_lshl_add_u64 v[62:63], v[38:39], 3, s[4:5]
	global_load_dwordx4 v[54:57], v[62:63], off
	global_load_dwordx2 v[64:65], v[62:63], off offset:16
	s_waitcnt lgkmcnt(0)
	; wave barrier
	s_waitcnt vmcnt(5) lgkmcnt(0)
	v_pk_mul_f32 v[68:69], v[58:59], v[18:19] op_sel:[0,1]
	s_waitcnt vmcnt(4)
	v_pk_mul_f32 v[62:63], v[46:47], v[14:15] op_sel:[0,1]
	v_pk_mul_f32 v[66:67], v[48:49], v[20:21] op_sel:[0,1]
	s_waitcnt vmcnt(2)
	v_pk_mul_f32 v[70:71], v[50:51], v[12:13] op_sel:[0,1]
	v_pk_mul_f32 v[72:73], v[52:53], v[10:11] op_sel:[0,1]
	;; [unrolled: 1-line block ×3, first 2 shown]
	s_waitcnt vmcnt(1)
	v_pk_mul_f32 v[76:77], v[54:55], v[8:9] op_sel:[0,1]
	v_pk_mul_f32 v[78:79], v[56:57], v[22:23] op_sel:[0,1]
	s_waitcnt vmcnt(0)
	v_pk_mul_f32 v[80:81], v[42:43], v[64:65] op_sel:[0,1]
	v_pk_fma_f32 v[82:83], v[46:47], v[14:15], v[62:63] op_sel:[0,0,1] op_sel_hi:[1,1,0]
	v_pk_fma_f32 v[14:15], v[46:47], v[14:15], v[62:63] op_sel:[0,0,1] op_sel_hi:[1,0,0] neg_lo:[1,0,0] neg_hi:[1,0,0]
	v_pk_fma_f32 v[46:47], v[48:49], v[20:21], v[66:67] op_sel:[0,0,1] op_sel_hi:[1,1,0]
	v_pk_fma_f32 v[20:21], v[48:49], v[20:21], v[66:67] op_sel:[0,0,1] op_sel_hi:[1,0,0] neg_lo:[1,0,0] neg_hi:[1,0,0]
	;; [unrolled: 2-line block ×9, first 2 shown]
	v_mov_b32_e32 v83, v15
	v_mov_b32_e32 v47, v21
	v_mov_b32_e32 v49, v19
	v_mov_b32_e32 v59, v13
	v_mov_b32_e32 v51, v11
	v_mov_b32_e32 v53, v17
	v_mov_b32_e32 v61, v9
	v_mov_b32_e32 v55, v23
	v_mov_b32_e32 v57, v43
	v_pk_add_f32 v[8:9], v[40:41], v[46:47] neg_lo:[0,1] neg_hi:[0,1]
	v_pk_add_f32 v[10:11], v[82:83], v[48:49] neg_lo:[0,1] neg_hi:[0,1]
	;; [unrolled: 1-line block ×6, first 2 shown]
	v_pk_fma_f32 v[20:21], v[40:41], 2.0, v[8:9] op_sel_hi:[1,0,1] neg_lo:[0,0,1] neg_hi:[0,0,1]
	v_pk_fma_f32 v[22:23], v[82:83], 2.0, v[10:11] op_sel_hi:[1,0,1] neg_lo:[0,0,1] neg_hi:[0,0,1]
	;; [unrolled: 1-line block ×4, first 2 shown]
	v_pk_add_f32 v[42:43], v[12:13], v[14:15] op_sel:[0,1] op_sel_hi:[1,0]
	v_pk_add_f32 v[14:15], v[12:13], v[14:15] op_sel:[0,1] op_sel_hi:[1,0] neg_lo:[0,1] neg_hi:[0,1]
	v_pk_add_f32 v[46:47], v[8:9], v[10:11] op_sel:[0,1] op_sel_hi:[1,0]
	v_pk_add_f32 v[10:11], v[8:9], v[10:11] op_sel:[0,1] op_sel_hi:[1,0] neg_lo:[0,1] neg_hi:[0,1]
	v_pk_fma_f32 v[36:37], v[36:37], 2.0, v[16:17] op_sel_hi:[1,0,1] neg_lo:[0,0,1] neg_hi:[0,0,1]
	v_pk_fma_f32 v[48:49], v[60:61], 2.0, v[18:19] op_sel_hi:[1,0,1] neg_lo:[0,0,1] neg_hi:[0,0,1]
	v_pk_add_f32 v[40:41], v[34:35], v[40:41] neg_lo:[0,1] neg_hi:[0,1]
	v_mov_b32_e32 v43, v15
	v_mov_b32_e32 v47, v11
	v_pk_add_f32 v[10:11], v[16:17], v[18:19] op_sel:[0,1] op_sel_hi:[1,0]
	v_pk_add_f32 v[14:15], v[16:17], v[18:19] op_sel:[0,1] op_sel_hi:[1,0] neg_lo:[0,1] neg_hi:[0,1]
	v_pk_add_f32 v[22:23], v[20:21], v[22:23] neg_lo:[0,1] neg_hi:[0,1]
	v_pk_add_f32 v[18:19], v[36:37], v[48:49] neg_lo:[0,1] neg_hi:[0,1]
	v_pk_fma_f32 v[34:35], v[34:35], 2.0, v[40:41] op_sel_hi:[1,0,1] neg_lo:[0,0,1] neg_hi:[0,0,1]
	v_pk_fma_f32 v[12:13], v[12:13], 2.0, v[42:43] op_sel_hi:[1,0,1] neg_lo:[0,0,1] neg_hi:[0,0,1]
	;; [unrolled: 1-line block ×3, first 2 shown]
	v_mov_b32_e32 v11, v15
	v_pk_fma_f32 v[20:21], v[20:21], 2.0, v[22:23] op_sel_hi:[1,0,1] neg_lo:[0,0,1] neg_hi:[0,0,1]
	ds_write2_b64 v29, v[40:41], v[42:43] offset0:26 offset1:39
	v_pk_fma_f32 v[14:15], v[36:37], 2.0, v[18:19] op_sel_hi:[1,0,1] neg_lo:[0,0,1] neg_hi:[0,0,1]
	ds_write2_b64 v29, v[34:35], v[12:13] offset1:13
	ds_write2_b64 v45, v[20:21], v[8:9] offset1:13
	ds_write2_b64 v45, v[22:23], v[46:47] offset0:26 offset1:39
	v_pk_fma_f32 v[8:9], v[16:17], 2.0, v[10:11] op_sel_hi:[1,0,1] neg_lo:[0,0,1] neg_hi:[0,0,1]
	ds_write2_b64 v44, v[14:15], v[8:9] offset1:13
	ds_write2_b64 v44, v[18:19], v[10:11] offset0:26 offset1:39
	s_and_saveexec_b64 s[6:7], s[2:3]
	s_cbranch_execz .LBB0_17
; %bb.16:
	v_add_u32_e32 v8, -3, v31
	v_cndmask_b32_e64 v38, v8, 36, s[2:3]
	v_lshl_add_u64 v[12:13], v[38:39], 3, s[4:5]
	global_load_dwordx4 v[8:11], v[12:13], off
	global_load_dwordx2 v[14:15], v[12:13], off offset:16
	v_mov_b32_e32 v12, v5
	v_mov_b32_e32 v16, v3
	;; [unrolled: 1-line block ×3, first 2 shown]
	s_waitcnt vmcnt(1)
	v_pk_mul_f32 v[12:13], v[12:13], v[10:11] op_sel_hi:[0,1]
	v_pk_mul_f32 v[16:17], v[16:17], v[8:9] op_sel_hi:[0,1]
	s_waitcnt vmcnt(0)
	v_pk_mul_f32 v[18:19], v[18:19], v[14:15] op_sel_hi:[0,1]
	v_pk_fma_f32 v[20:21], v[4:5], v[10:11], v[12:13] op_sel:[0,0,1] op_sel_hi:[1,1,0]
	v_pk_fma_f32 v[4:5], v[4:5], v[10:11], v[12:13] op_sel:[0,0,1] op_sel_hi:[0,1,0] neg_lo:[1,0,0] neg_hi:[1,0,0]
	v_pk_fma_f32 v[10:11], v[2:3], v[8:9], v[16:17] op_sel:[0,0,1] op_sel_hi:[1,1,0]
	v_pk_fma_f32 v[2:3], v[2:3], v[8:9], v[16:17] op_sel:[0,0,1] op_sel_hi:[0,1,0] neg_lo:[1,0,0] neg_hi:[1,0,0]
	;; [unrolled: 2-line block ×3, first 2 shown]
	v_mov_b32_e32 v21, v5
	v_mov_b32_e32 v11, v3
	;; [unrolled: 1-line block ×3, first 2 shown]
	v_pk_add_f32 v[2:3], v[0:1], v[20:21] neg_lo:[0,1] neg_hi:[0,1]
	v_pk_add_f32 v[4:5], v[10:11], v[8:9] neg_lo:[0,1] neg_hi:[0,1]
	v_pk_fma_f32 v[0:1], v[0:1], 2.0, v[2:3] op_sel_hi:[1,0,1] neg_lo:[0,0,1] neg_hi:[0,0,1]
	v_pk_fma_f32 v[6:7], v[10:11], 2.0, v[4:5] op_sel_hi:[1,0,1] neg_lo:[0,0,1] neg_hi:[0,0,1]
	v_pk_add_f32 v[8:9], v[2:3], v[4:5] op_sel:[0,1] op_sel_hi:[1,0]
	v_pk_add_f32 v[4:5], v[2:3], v[4:5] op_sel:[0,1] op_sel_hi:[1,0] neg_lo:[0,1] neg_hi:[0,1]
	v_pk_add_f32 v[6:7], v[0:1], v[6:7] neg_lo:[0,1] neg_hi:[0,1]
	v_mov_b32_e32 v9, v5
	v_pk_fma_f32 v[0:1], v[0:1], 2.0, v[6:7] op_sel_hi:[1,0,1] neg_lo:[0,0,1] neg_hi:[0,0,1]
	v_pk_fma_f32 v[2:3], v[2:3], 2.0, v[8:9] op_sel_hi:[1,0,1] neg_lo:[0,0,1] neg_hi:[0,0,1]
	ds_write2_b64 v25, v[0:1], v[2:3] offset0:12 offset1:25
	ds_write2_b64 v25, v[6:7], v[8:9] offset0:38 offset1:51
.LBB0_17:
	s_or_b64 exec, exec, s[6:7]
	s_waitcnt lgkmcnt(0)
	; wave barrier
	s_waitcnt lgkmcnt(0)
	ds_read_b64 v[2:3], v33
	v_sub_u32_e32 v8, v25, v32
                                        ; implicit-def: $vgpr6_vgpr7
                                        ; implicit-def: $vgpr5
                                        ; implicit-def: $vgpr0_vgpr1
	s_and_saveexec_b64 s[2:3], s[0:1]
	s_xor_b64 s[0:1], exec, s[2:3]
	s_cbranch_execz .LBB0_19
; %bb.18:
	global_load_dwordx2 v[0:1], v32, s[4:5] offset:312
	ds_read_b64 v[4:5], v8 offset:416
	v_mov_b32_e32 v7, 0.5
	v_mov_b32_e32 v10, v7
	v_mov_b32_e32 v25, 0
	s_waitcnt lgkmcnt(0)
	v_pk_add_f32 v[12:13], v[4:5], v[2:3]
	v_pk_add_f32 v[2:3], v[2:3], v[4:5] neg_lo:[0,1] neg_hi:[0,1]
	v_mov_b32_e32 v4, v13
	v_mov_b32_e32 v5, v2
	v_pk_mul_f32 v[14:15], v[4:5], 0.5 op_sel_hi:[1,0]
	s_waitcnt vmcnt(0)
	v_mov_b32_e32 v6, v1
	v_mov_b32_e32 v2, v15
	;; [unrolled: 1-line block ×4, first 2 shown]
	v_pk_mul_f32 v[2:3], v[6:7], v[2:3]
	v_pk_mul_f32 v[4:5], v[0:1], v[14:15] op_sel_hi:[0,1]
	v_pk_fma_f32 v[6:7], v[12:13], v[10:11], v[2:3]
	v_pk_fma_f32 v[2:3], v[12:13], v[10:11], v[2:3] neg_lo:[0,0,1] neg_hi:[0,0,1]
	v_add_f32_e32 v4, v4, v6
	v_sub_f32_e32 v5, v7, v5
	v_pk_fma_f32 v[6:7], v[0:1], v[14:15], v[2:3] op_sel_hi:[0,1,1] neg_lo:[1,0,0] neg_hi:[1,0,0]
	ds_write_b32 v33, v4
	v_mov_b64_e32 v[0:1], v[24:25]
                                        ; implicit-def: $vgpr2_vgpr3
                                        ; implicit-def: $vgpr25
.LBB0_19:
	s_andn2_saveexec_b64 s[0:1], s[0:1]
	s_cbranch_execz .LBB0_21
; %bb.20:
	ds_read_b32 v1, v25 offset:212
	s_waitcnt lgkmcnt(1)
	v_mov_b32_e32 v0, v3
	v_add_f32_e32 v4, v3, v2
	ds_write_b32 v33, v4
	s_waitcnt lgkmcnt(1)
	v_pk_add_f32 v[4:5], v[2:3], v[0:1] neg_lo:[0,1] neg_hi:[0,1]
	v_xor_b32_e32 v0, 0x80000000, v1
	v_mov_b32_e32 v5, 0
	ds_write_b32 v25, v0 offset:212
	v_mov_b64_e32 v[0:1], 0
	v_mov_b64_e32 v[6:7], v[4:5]
.LBB0_21:
	s_or_b64 exec, exec, s[0:1]
	v_mov_b32_e32 v29, 0
	s_waitcnt lgkmcnt(0)
	v_lshl_add_u64 v[2:3], v[28:29], 3, s[4:5]
	global_load_dwordx2 v[10:11], v[2:3], off offset:312
	v_mov_b32_e32 v31, v29
	v_lshl_add_u64 v[2:3], v[30:31], 3, s[4:5]
	global_load_dwordx2 v[12:13], v[2:3], off offset:312
	s_add_u32 s0, s4, 0x138
	s_addc_u32 s1, s5, 0
	v_lshl_add_u64 v[2:3], v[0:1], 3, s[0:1]
	global_load_dwordx2 v[14:15], v[2:3], off offset:96
	global_load_dwordx2 v[16:17], v[2:3], off offset:128
	ds_write_b32 v33, v5 offset:4
	ds_write_b64 v8, v[6:7] offset:416
	ds_read_b64 v[6:7], v45
	ds_read_b64 v[18:19], v8 offset:384
	global_load_dwordx2 v[22:23], v[2:3], off offset:160
	v_mov_b32_e32 v5, 0.5
	v_mov_b32_e32 v20, v5
	v_or_b32_e32 v9, 24, v24
	s_waitcnt lgkmcnt(0)
	v_pk_add_f32 v[28:29], v[6:7], v[18:19]
	v_pk_add_f32 v[6:7], v[6:7], v[18:19] neg_lo:[0,1] neg_hi:[0,1]
	v_mov_b32_e32 v18, v29
	v_mov_b32_e32 v19, v6
	v_pk_mul_f32 v[18:19], v[18:19], 0.5 op_sel_hi:[1,0]
	v_cmp_gt_u32_e64 s[0:1], 26, v9
	v_mov_b32_e32 v6, v19
	v_mov_b32_e32 v29, v18
	s_waitcnt vmcnt(4)
	v_mov_b32_e32 v4, v11
	v_mov_b32_e32 v21, v11
	v_pk_mul_f32 v[6:7], v[4:5], v[6:7]
	s_waitcnt vmcnt(3)
	v_mov_b32_e32 v4, v13
	v_pk_fma_f32 v[30:31], v[28:29], v[20:21], v[6:7]
	v_pk_fma_f32 v[6:7], v[28:29], v[20:21], v[6:7] neg_lo:[0,0,1] neg_hi:[0,0,1]
	v_pk_fma_f32 v[20:21], v[10:11], v[18:19], v[30:31]
	v_pk_fma_f32 v[28:29], v[10:11], v[18:19], v[30:31] op_sel_hi:[0,1,1] neg_lo:[1,0,0] neg_hi:[1,0,0]
	v_mov_b32_e32 v21, v29
	v_pk_fma_f32 v[6:7], v[10:11], v[18:19], v[6:7] op_sel_hi:[0,1,1] neg_lo:[1,0,0] neg_hi:[1,0,0]
	ds_write_b64 v45, v[20:21]
	ds_write_b64 v8, v[6:7] offset:384
	ds_read_b64 v[6:7], v44
	ds_read_b64 v[10:11], v8 offset:352
	v_mov_b32_e32 v18, v5
	v_mov_b32_e32 v19, v13
	s_waitcnt lgkmcnt(0)
	v_pk_add_f32 v[20:21], v[6:7], v[10:11]
	v_pk_add_f32 v[6:7], v[6:7], v[10:11] neg_lo:[0,1] neg_hi:[0,1]
	v_mov_b32_e32 v10, v21
	v_mov_b32_e32 v11, v6
	v_pk_mul_f32 v[10:11], v[10:11], 0.5 op_sel_hi:[1,0]
	s_nop 0
	v_mov_b32_e32 v6, v11
	v_mov_b32_e32 v21, v10
	v_pk_mul_f32 v[6:7], v[4:5], v[6:7]
	s_waitcnt vmcnt(2)
	v_mov_b32_e32 v4, v15
	v_pk_fma_f32 v[28:29], v[20:21], v[18:19], v[6:7]
	v_pk_fma_f32 v[6:7], v[20:21], v[18:19], v[6:7] neg_lo:[0,0,1] neg_hi:[0,0,1]
	v_pk_fma_f32 v[18:19], v[12:13], v[10:11], v[28:29]
	v_pk_fma_f32 v[20:21], v[12:13], v[10:11], v[28:29] op_sel_hi:[0,1,1] neg_lo:[1,0,0] neg_hi:[1,0,0]
	v_mov_b32_e32 v19, v21
	v_pk_fma_f32 v[6:7], v[12:13], v[10:11], v[6:7] op_sel_hi:[0,1,1] neg_lo:[1,0,0] neg_hi:[1,0,0]
	ds_write_b64 v44, v[18:19]
	ds_write_b64 v8, v[6:7] offset:352
	ds_read_b64 v[6:7], v33 offset:96
	ds_read_b64 v[10:11], v8 offset:320
	v_mov_b32_e32 v12, v5
	v_mov_b32_e32 v13, v15
	s_waitcnt lgkmcnt(0)
	v_pk_add_f32 v[18:19], v[6:7], v[10:11]
	v_pk_add_f32 v[6:7], v[6:7], v[10:11] neg_lo:[0,1] neg_hi:[0,1]
	v_mov_b32_e32 v10, v19
	v_mov_b32_e32 v11, v6
	v_pk_mul_f32 v[10:11], v[10:11], 0.5 op_sel_hi:[1,0]
	s_nop 0
	v_mov_b32_e32 v6, v11
	v_mov_b32_e32 v19, v10
	v_pk_mul_f32 v[6:7], v[4:5], v[6:7]
	s_waitcnt vmcnt(1)
	v_mov_b32_e32 v4, v17
	v_pk_fma_f32 v[20:21], v[18:19], v[12:13], v[6:7]
	v_pk_fma_f32 v[6:7], v[18:19], v[12:13], v[6:7] neg_lo:[0,0,1] neg_hi:[0,0,1]
	v_pk_fma_f32 v[12:13], v[14:15], v[10:11], v[20:21]
	v_pk_fma_f32 v[18:19], v[14:15], v[10:11], v[20:21] op_sel_hi:[0,1,1] neg_lo:[1,0,0] neg_hi:[1,0,0]
	v_mov_b32_e32 v13, v19
	v_pk_fma_f32 v[6:7], v[14:15], v[10:11], v[6:7] op_sel_hi:[0,1,1] neg_lo:[1,0,0] neg_hi:[1,0,0]
	ds_write_b64 v33, v[12:13] offset:96
	ds_write_b64 v8, v[6:7] offset:320
	ds_read_b64 v[6:7], v33 offset:128
	ds_read_b64 v[10:11], v8 offset:288
	v_mov_b32_e32 v12, v5
	v_mov_b32_e32 v13, v17
	s_waitcnt lgkmcnt(0)
	v_pk_add_f32 v[14:15], v[6:7], v[10:11]
	v_pk_add_f32 v[6:7], v[6:7], v[10:11] neg_lo:[0,1] neg_hi:[0,1]
	v_mov_b32_e32 v10, v15
	v_mov_b32_e32 v11, v6
	v_pk_mul_f32 v[10:11], v[10:11], 0.5 op_sel_hi:[1,0]
	s_nop 0
	v_mov_b32_e32 v6, v11
	v_mov_b32_e32 v15, v10
	v_pk_mul_f32 v[6:7], v[4:5], v[6:7]
	s_waitcnt vmcnt(0)
	v_mov_b32_e32 v4, v23
	v_pk_fma_f32 v[18:19], v[14:15], v[12:13], v[6:7]
	v_pk_fma_f32 v[6:7], v[14:15], v[12:13], v[6:7] neg_lo:[0,0,1] neg_hi:[0,0,1]
	v_pk_fma_f32 v[12:13], v[16:17], v[10:11], v[18:19]
	v_pk_fma_f32 v[14:15], v[16:17], v[10:11], v[18:19] op_sel_hi:[0,1,1] neg_lo:[1,0,0] neg_hi:[1,0,0]
	v_mov_b32_e32 v13, v15
	v_pk_fma_f32 v[6:7], v[16:17], v[10:11], v[6:7] op_sel_hi:[0,1,1] neg_lo:[1,0,0] neg_hi:[1,0,0]
	ds_write_b64 v33, v[12:13] offset:128
	ds_write_b64 v8, v[6:7] offset:288
	ds_read_b64 v[6:7], v33 offset:160
	ds_read_b64 v[10:11], v8 offset:256
	v_mov_b32_e32 v12, v5
	v_mov_b32_e32 v13, v23
	s_waitcnt lgkmcnt(0)
	v_pk_add_f32 v[14:15], v[6:7], v[10:11]
	v_pk_add_f32 v[6:7], v[6:7], v[10:11] neg_lo:[0,1] neg_hi:[0,1]
	v_mov_b32_e32 v10, v15
	v_mov_b32_e32 v11, v6
	v_pk_mul_f32 v[10:11], v[10:11], 0.5 op_sel_hi:[1,0]
	s_nop 0
	v_mov_b32_e32 v6, v11
	v_mov_b32_e32 v15, v10
	v_pk_mul_f32 v[6:7], v[4:5], v[6:7]
	s_nop 0
	v_pk_fma_f32 v[16:17], v[14:15], v[12:13], v[6:7]
	v_pk_fma_f32 v[6:7], v[14:15], v[12:13], v[6:7] neg_lo:[0,0,1] neg_hi:[0,0,1]
	v_pk_fma_f32 v[12:13], v[22:23], v[10:11], v[16:17]
	v_pk_fma_f32 v[14:15], v[22:23], v[10:11], v[16:17] op_sel_hi:[0,1,1] neg_lo:[1,0,0] neg_hi:[1,0,0]
	v_mov_b32_e32 v13, v15
	v_pk_fma_f32 v[6:7], v[22:23], v[10:11], v[6:7] op_sel_hi:[0,1,1] neg_lo:[1,0,0] neg_hi:[1,0,0]
	ds_write_b64 v33, v[12:13] offset:160
	ds_write_b64 v8, v[6:7] offset:256
	s_and_saveexec_b64 s[2:3], s[0:1]
	s_cbranch_execz .LBB0_23
; %bb.22:
	global_load_dwordx2 v[2:3], v[2:3], off offset:192
	ds_read_b64 v[6:7], v33 offset:192
	ds_read_b64 v[10:11], v8 offset:224
	v_mov_b32_e32 v12, v5
	s_waitcnt lgkmcnt(0)
	v_pk_add_f32 v[14:15], v[6:7], v[10:11]
	v_pk_add_f32 v[6:7], v[6:7], v[10:11] neg_lo:[0,1] neg_hi:[0,1]
	v_mov_b32_e32 v10, v15
	v_mov_b32_e32 v11, v6
	v_pk_mul_f32 v[10:11], v[10:11], 0.5 op_sel_hi:[1,0]
	s_waitcnt vmcnt(0)
	v_mov_b32_e32 v4, v3
	v_mov_b32_e32 v6, v11
	;; [unrolled: 1-line block ×4, first 2 shown]
	v_pk_mul_f32 v[4:5], v[4:5], v[6:7]
	s_nop 0
	v_pk_fma_f32 v[6:7], v[14:15], v[12:13], v[4:5]
	v_pk_fma_f32 v[4:5], v[14:15], v[12:13], v[4:5] neg_lo:[0,0,1] neg_hi:[0,0,1]
	v_pk_fma_f32 v[12:13], v[2:3], v[10:11], v[6:7]
	v_pk_fma_f32 v[6:7], v[2:3], v[10:11], v[6:7] op_sel_hi:[0,1,1] neg_lo:[1,0,0] neg_hi:[1,0,0]
	v_mov_b32_e32 v13, v7
	v_pk_fma_f32 v[2:3], v[2:3], v[10:11], v[4:5] op_sel_hi:[0,1,1] neg_lo:[1,0,0] neg_hi:[1,0,0]
	ds_write_b64 v33, v[12:13] offset:192
	ds_write_b64 v8, v[2:3] offset:224
.LBB0_23:
	s_or_b64 exec, exec, s[2:3]
	s_waitcnt lgkmcnt(0)
	; wave barrier
	s_waitcnt lgkmcnt(0)
	s_and_saveexec_b64 s[0:1], vcc
	s_cbranch_execz .LBB0_26
; %bb.24:
	ds_read2_b64 v[2:5], v33 offset1:4
	ds_read2_b64 v[6:9], v33 offset0:8 offset1:12
	ds_read2_b64 v[10:13], v33 offset0:16 offset1:20
	v_lshl_add_u64 v[14:15], v[0:1], 3, v[26:27]
	v_cmp_eq_u32_e32 vcc, 3, v24
	s_waitcnt lgkmcnt(2)
	global_store_dwordx2 v[14:15], v[2:3], off
	global_store_dwordx2 v[14:15], v[4:5], off offset:32
	s_waitcnt lgkmcnt(1)
	global_store_dwordx2 v[14:15], v[6:7], off offset:64
	ds_read2_b64 v[0:3], v33 offset0:24 offset1:28
	global_store_dwordx2 v[14:15], v[8:9], off offset:96
	s_waitcnt lgkmcnt(1)
	global_store_dwordx2 v[14:15], v[10:11], off offset:128
	global_store_dwordx2 v[14:15], v[12:13], off offset:160
	ds_read2_b64 v[4:7], v33 offset0:32 offset1:36
	ds_read2_b64 v[8:11], v33 offset0:40 offset1:44
	s_waitcnt lgkmcnt(2)
	global_store_dwordx2 v[14:15], v[0:1], off offset:192
	ds_read_b64 v[0:1], v33 offset:384
	global_store_dwordx2 v[14:15], v[2:3], off offset:224
	s_waitcnt lgkmcnt(2)
	global_store_dwordx2 v[14:15], v[4:5], off offset:256
	global_store_dwordx2 v[14:15], v[6:7], off offset:288
	s_waitcnt lgkmcnt(1)
	global_store_dwordx2 v[14:15], v[8:9], off offset:320
	;; [unrolled: 3-line block ×3, first 2 shown]
	s_and_b64 exec, exec, vcc
	s_cbranch_execz .LBB0_26
; %bb.25:
	ds_read_b64 v[0:1], v33 offset:392
	s_waitcnt lgkmcnt(0)
	global_store_dwordx2 v[26:27], v[0:1], off offset:416
.LBB0_26:
	s_endpgm
	.section	.rodata,"a",@progbits
	.p2align	6, 0x0
	.amdhsa_kernel fft_rtc_back_len52_factors_13_4_wgs_64_tpt_4_halfLds_sp_ip_CI_unitstride_sbrr_R2C_dirReg
		.amdhsa_group_segment_fixed_size 0
		.amdhsa_private_segment_fixed_size 0
		.amdhsa_kernarg_size 88
		.amdhsa_user_sgpr_count 2
		.amdhsa_user_sgpr_dispatch_ptr 0
		.amdhsa_user_sgpr_queue_ptr 0
		.amdhsa_user_sgpr_kernarg_segment_ptr 1
		.amdhsa_user_sgpr_dispatch_id 0
		.amdhsa_user_sgpr_kernarg_preload_length 0
		.amdhsa_user_sgpr_kernarg_preload_offset 0
		.amdhsa_user_sgpr_private_segment_size 0
		.amdhsa_uses_dynamic_stack 0
		.amdhsa_enable_private_segment 0
		.amdhsa_system_sgpr_workgroup_id_x 1
		.amdhsa_system_sgpr_workgroup_id_y 0
		.amdhsa_system_sgpr_workgroup_id_z 0
		.amdhsa_system_sgpr_workgroup_info 0
		.amdhsa_system_vgpr_workitem_id 0
		.amdhsa_next_free_vgpr 154
		.amdhsa_next_free_sgpr 32
		.amdhsa_accum_offset 156
		.amdhsa_reserve_vcc 1
		.amdhsa_float_round_mode_32 0
		.amdhsa_float_round_mode_16_64 0
		.amdhsa_float_denorm_mode_32 3
		.amdhsa_float_denorm_mode_16_64 3
		.amdhsa_dx10_clamp 1
		.amdhsa_ieee_mode 1
		.amdhsa_fp16_overflow 0
		.amdhsa_tg_split 0
		.amdhsa_exception_fp_ieee_invalid_op 0
		.amdhsa_exception_fp_denorm_src 0
		.amdhsa_exception_fp_ieee_div_zero 0
		.amdhsa_exception_fp_ieee_overflow 0
		.amdhsa_exception_fp_ieee_underflow 0
		.amdhsa_exception_fp_ieee_inexact 0
		.amdhsa_exception_int_div_zero 0
	.end_amdhsa_kernel
	.text
.Lfunc_end0:
	.size	fft_rtc_back_len52_factors_13_4_wgs_64_tpt_4_halfLds_sp_ip_CI_unitstride_sbrr_R2C_dirReg, .Lfunc_end0-fft_rtc_back_len52_factors_13_4_wgs_64_tpt_4_halfLds_sp_ip_CI_unitstride_sbrr_R2C_dirReg
                                        ; -- End function
	.section	.AMDGPU.csdata,"",@progbits
; Kernel info:
; codeLenInByte = 6464
; NumSgprs: 38
; NumVgprs: 154
; NumAgprs: 0
; TotalNumVgprs: 154
; ScratchSize: 0
; MemoryBound: 0
; FloatMode: 240
; IeeeMode: 1
; LDSByteSize: 0 bytes/workgroup (compile time only)
; SGPRBlocks: 4
; VGPRBlocks: 19
; NumSGPRsForWavesPerEU: 38
; NumVGPRsForWavesPerEU: 154
; AccumOffset: 156
; Occupancy: 3
; WaveLimiterHint : 1
; COMPUTE_PGM_RSRC2:SCRATCH_EN: 0
; COMPUTE_PGM_RSRC2:USER_SGPR: 2
; COMPUTE_PGM_RSRC2:TRAP_HANDLER: 0
; COMPUTE_PGM_RSRC2:TGID_X_EN: 1
; COMPUTE_PGM_RSRC2:TGID_Y_EN: 0
; COMPUTE_PGM_RSRC2:TGID_Z_EN: 0
; COMPUTE_PGM_RSRC2:TIDIG_COMP_CNT: 0
; COMPUTE_PGM_RSRC3_GFX90A:ACCUM_OFFSET: 38
; COMPUTE_PGM_RSRC3_GFX90A:TG_SPLIT: 0
	.text
	.p2alignl 6, 3212836864
	.fill 256, 4, 3212836864
	.type	__hip_cuid_7f39fa78ee194177,@object ; @__hip_cuid_7f39fa78ee194177
	.section	.bss,"aw",@nobits
	.globl	__hip_cuid_7f39fa78ee194177
__hip_cuid_7f39fa78ee194177:
	.byte	0                               ; 0x0
	.size	__hip_cuid_7f39fa78ee194177, 1

	.ident	"AMD clang version 19.0.0git (https://github.com/RadeonOpenCompute/llvm-project roc-6.4.0 25133 c7fe45cf4b819c5991fe208aaa96edf142730f1d)"
	.section	".note.GNU-stack","",@progbits
	.addrsig
	.addrsig_sym __hip_cuid_7f39fa78ee194177
	.amdgpu_metadata
---
amdhsa.kernels:
  - .agpr_count:     0
    .args:
      - .actual_access:  read_only
        .address_space:  global
        .offset:         0
        .size:           8
        .value_kind:     global_buffer
      - .offset:         8
        .size:           8
        .value_kind:     by_value
      - .actual_access:  read_only
        .address_space:  global
        .offset:         16
        .size:           8
        .value_kind:     global_buffer
      - .actual_access:  read_only
        .address_space:  global
        .offset:         24
        .size:           8
        .value_kind:     global_buffer
      - .offset:         32
        .size:           8
        .value_kind:     by_value
      - .actual_access:  read_only
        .address_space:  global
        .offset:         40
        .size:           8
        .value_kind:     global_buffer
      - .actual_access:  read_only
        .address_space:  global
        .offset:         48
        .size:           8
        .value_kind:     global_buffer
      - .offset:         56
        .size:           4
        .value_kind:     by_value
      - .actual_access:  read_only
        .address_space:  global
        .offset:         64
        .size:           8
        .value_kind:     global_buffer
      - .actual_access:  read_only
        .address_space:  global
        .offset:         72
        .size:           8
        .value_kind:     global_buffer
      - .address_space:  global
        .offset:         80
        .size:           8
        .value_kind:     global_buffer
    .group_segment_fixed_size: 0
    .kernarg_segment_align: 8
    .kernarg_segment_size: 88
    .language:       OpenCL C
    .language_version:
      - 2
      - 0
    .max_flat_workgroup_size: 64
    .name:           fft_rtc_back_len52_factors_13_4_wgs_64_tpt_4_halfLds_sp_ip_CI_unitstride_sbrr_R2C_dirReg
    .private_segment_fixed_size: 0
    .sgpr_count:     38
    .sgpr_spill_count: 0
    .symbol:         fft_rtc_back_len52_factors_13_4_wgs_64_tpt_4_halfLds_sp_ip_CI_unitstride_sbrr_R2C_dirReg.kd
    .uniform_work_group_size: 1
    .uses_dynamic_stack: false
    .vgpr_count:     154
    .vgpr_spill_count: 0
    .wavefront_size: 64
amdhsa.target:   amdgcn-amd-amdhsa--gfx950
amdhsa.version:
  - 1
  - 2
...

	.end_amdgpu_metadata
